;; amdgpu-corpus repo=ROCm/aiter kind=compiled arch=gfx1250 opt=O3
	.amdgcn_target "amdgcn-amd-amdhsa--gfx1250"
	.amdhsa_code_object_version 6
	.section	.text._Z22predicated_copy_kernelILi256ELi4EEvPKfPfi,"axG",@progbits,_Z22predicated_copy_kernelILi256ELi4EEvPKfPfi,comdat
	.protected	_Z22predicated_copy_kernelILi256ELi4EEvPKfPfi ; -- Begin function _Z22predicated_copy_kernelILi256ELi4EEvPKfPfi
	.globl	_Z22predicated_copy_kernelILi256ELi4EEvPKfPfi
	.p2align	8
	.type	_Z22predicated_copy_kernelILi256ELi4EEvPKfPfi,@function
_Z22predicated_copy_kernelILi256ELi4EEvPKfPfi: ; @_Z22predicated_copy_kernelILi256ELi4EEvPKfPfi
; %bb.0:
	s_clause 0x1
	s_load_b32 s10, s[0:1], 0x10
	s_load_b64 s[2:3], s[0:1], 0x0
	s_bfe_u32 s4, ttmp6, 0x4000c
	s_and_b32 s5, ttmp6, 15
	s_add_co_i32 s4, s4, 1
	s_getreg_b32 s6, hwreg(HW_REG_IB_STS2, 6, 4)
	s_mul_i32 s4, ttmp9, s4
	v_dual_mov_b32 v1, 0 :: v_dual_lshlrev_b32 v0, 2, v0
	s_add_co_i32 s5, s5, s4
	s_cmp_eq_u32 s6, 0
	s_mov_b64 s[6:7], 0x1ffffff
	s_cselect_b32 s4, ttmp9, s5
	v_mov_b32_e32 v3, 0
	v_lshl_add_u32 v5, s4, 10, v0
	s_delay_alu instid0(VALU_DEP_1)
	v_lshlrev_b32_e32 v0, 2, v5
	s_wait_kmcnt 0x0
	v_cmp_gt_i32_e32 vcc_lo, s10, v5
	s_or_b64 s[4:5], s[2:3], 0xfe00000000000000
	s_and_saveexec_b32 s2, vcc_lo
	s_cbranch_execz .LBB0_2
; %bb.1:
	buffer_load_b32 v3, v0, s[4:7], null offen
.LBB0_2:
	s_wait_xcnt 0x0
	s_or_b32 exec_lo, exec_lo, s2
	v_or_b32_e32 v2, 1, v5
	s_delay_alu instid0(VALU_DEP_1)
	v_cmp_gt_i32_e64 s2, s10, v2
	s_and_saveexec_b32 s3, s2
	s_cbranch_execz .LBB0_4
; %bb.3:
	buffer_load_b32 v1, v0, s[4:7], null offen offset:4
.LBB0_4:
	s_wait_xcnt 0x0
	s_or_b32 exec_lo, exec_lo, s3
	v_dual_mov_b32 v2, 0 :: v_dual_bitop2_b32 v4, 2, v5 bitop3:0x54
	s_delay_alu instid0(VALU_DEP_1)
	v_cmp_gt_i32_e64 s3, s10, v4
	v_mov_b32_e32 v4, 0
	s_and_saveexec_b32 s8, s3
	s_cbranch_execz .LBB0_6
; %bb.5:
	buffer_load_b32 v4, v0, s[4:7], null offen offset:8
.LBB0_6:
	s_wait_xcnt 0x0
	s_or_b32 exec_lo, exec_lo, s8
	s_load_b64 s[8:9], s[0:1], 0x8
	v_or_b32_e32 v5, 3, v5
	s_wait_xcnt 0x0
	s_delay_alu instid0(VALU_DEP_1)
	v_cmp_gt_i32_e64 s0, s10, v5
	s_and_saveexec_b32 s1, s0
	s_cbranch_execnz .LBB0_12
; %bb.7:
	s_or_b32 exec_lo, exec_lo, s1
	s_wait_kmcnt 0x0
	s_or_b64 s[4:5], s[8:9], 0xfe00000000000000
	s_and_saveexec_b32 s1, vcc_lo
	s_cbranch_execnz .LBB0_13
.LBB0_8:
	s_or_b32 exec_lo, exec_lo, s1
	s_and_saveexec_b32 s1, s2
	s_cbranch_execnz .LBB0_14
.LBB0_9:
	s_or_b32 exec_lo, exec_lo, s1
	s_and_saveexec_b32 s1, s3
	s_cbranch_execnz .LBB0_15
.LBB0_10:
	s_or_b32 exec_lo, exec_lo, s1
	s_and_saveexec_b32 s1, s0
	s_cbranch_execnz .LBB0_16
.LBB0_11:
	s_endpgm
.LBB0_12:
	buffer_load_b32 v2, v0, s[4:7], null offen offset:12
	s_wait_xcnt 0x0
	s_or_b32 exec_lo, exec_lo, s1
	s_wait_kmcnt 0x0
	s_or_b64 s[4:5], s[8:9], 0xfe00000000000000
	s_and_saveexec_b32 s1, vcc_lo
	s_cbranch_execz .LBB0_8
.LBB0_13:
	s_wait_loadcnt 0x0
	buffer_store_b32 v3, v0, s[4:7], null offen
	s_wait_xcnt 0x0
	s_or_b32 exec_lo, exec_lo, s1
	s_and_saveexec_b32 s1, s2
	s_cbranch_execz .LBB0_9
.LBB0_14:
	s_wait_loadcnt 0x0
	buffer_store_b32 v1, v0, s[4:7], null offen offset:4
	s_wait_xcnt 0x0
	s_or_b32 exec_lo, exec_lo, s1
	s_and_saveexec_b32 s1, s3
	s_cbranch_execz .LBB0_10
.LBB0_15:
	s_wait_loadcnt 0x0
	buffer_store_b32 v4, v0, s[4:7], null offen offset:8
	s_wait_xcnt 0x0
	s_or_b32 exec_lo, exec_lo, s1
	s_and_saveexec_b32 s1, s0
	s_cbranch_execz .LBB0_11
.LBB0_16:
	s_wait_loadcnt 0x0
	buffer_store_b32 v2, v0, s[4:7], null offen offset:12
	s_endpgm
	.section	.rodata,"a",@progbits
	.p2align	6, 0x0
	.amdhsa_kernel _Z22predicated_copy_kernelILi256ELi4EEvPKfPfi
		.amdhsa_group_segment_fixed_size 0
		.amdhsa_private_segment_fixed_size 0
		.amdhsa_kernarg_size 20
		.amdhsa_user_sgpr_count 2
		.amdhsa_user_sgpr_dispatch_ptr 0
		.amdhsa_user_sgpr_queue_ptr 0
		.amdhsa_user_sgpr_kernarg_segment_ptr 1
		.amdhsa_user_sgpr_dispatch_id 0
		.amdhsa_user_sgpr_kernarg_preload_length 0
		.amdhsa_user_sgpr_kernarg_preload_offset 0
		.amdhsa_user_sgpr_private_segment_size 0
		.amdhsa_wavefront_size32 1
		.amdhsa_uses_dynamic_stack 0
		.amdhsa_enable_private_segment 0
		.amdhsa_system_sgpr_workgroup_id_x 1
		.amdhsa_system_sgpr_workgroup_id_y 0
		.amdhsa_system_sgpr_workgroup_id_z 0
		.amdhsa_system_sgpr_workgroup_info 0
		.amdhsa_system_vgpr_workitem_id 0
		.amdhsa_next_free_vgpr 6
		.amdhsa_next_free_sgpr 11
		.amdhsa_named_barrier_count 0
		.amdhsa_reserve_vcc 1
		.amdhsa_float_round_mode_32 0
		.amdhsa_float_round_mode_16_64 0
		.amdhsa_float_denorm_mode_32 3
		.amdhsa_float_denorm_mode_16_64 3
		.amdhsa_fp16_overflow 0
		.amdhsa_memory_ordered 1
		.amdhsa_forward_progress 1
		.amdhsa_inst_pref_size 4
		.amdhsa_round_robin_scheduling 0
		.amdhsa_exception_fp_ieee_invalid_op 0
		.amdhsa_exception_fp_denorm_src 0
		.amdhsa_exception_fp_ieee_div_zero 0
		.amdhsa_exception_fp_ieee_overflow 0
		.amdhsa_exception_fp_ieee_underflow 0
		.amdhsa_exception_fp_ieee_inexact 0
		.amdhsa_exception_int_div_zero 0
	.end_amdhsa_kernel
	.section	.text._Z22predicated_copy_kernelILi256ELi4EEvPKfPfi,"axG",@progbits,_Z22predicated_copy_kernelILi256ELi4EEvPKfPfi,comdat
.Lfunc_end0:
	.size	_Z22predicated_copy_kernelILi256ELi4EEvPKfPfi, .Lfunc_end0-_Z22predicated_copy_kernelILi256ELi4EEvPKfPfi
                                        ; -- End function
	.set _Z22predicated_copy_kernelILi256ELi4EEvPKfPfi.num_vgpr, 6
	.set _Z22predicated_copy_kernelILi256ELi4EEvPKfPfi.num_agpr, 0
	.set _Z22predicated_copy_kernelILi256ELi4EEvPKfPfi.numbered_sgpr, 11
	.set _Z22predicated_copy_kernelILi256ELi4EEvPKfPfi.num_named_barrier, 0
	.set _Z22predicated_copy_kernelILi256ELi4EEvPKfPfi.private_seg_size, 0
	.set _Z22predicated_copy_kernelILi256ELi4EEvPKfPfi.uses_vcc, 1
	.set _Z22predicated_copy_kernelILi256ELi4EEvPKfPfi.uses_flat_scratch, 0
	.set _Z22predicated_copy_kernelILi256ELi4EEvPKfPfi.has_dyn_sized_stack, 0
	.set _Z22predicated_copy_kernelILi256ELi4EEvPKfPfi.has_recursion, 0
	.set _Z22predicated_copy_kernelILi256ELi4EEvPKfPfi.has_indirect_call, 0
	.section	.AMDGPU.csdata,"",@progbits
; Kernel info:
; codeLenInByte = 504
; TotalNumSgprs: 13
; NumVgprs: 6
; ScratchSize: 0
; MemoryBound: 0
; FloatMode: 240
; IeeeMode: 1
; LDSByteSize: 0 bytes/workgroup (compile time only)
; SGPRBlocks: 0
; VGPRBlocks: 0
; NumSGPRsForWavesPerEU: 13
; NumVGPRsForWavesPerEU: 6
; NamedBarCnt: 0
; Occupancy: 16
; WaveLimiterHint : 0
; COMPUTE_PGM_RSRC2:SCRATCH_EN: 0
; COMPUTE_PGM_RSRC2:USER_SGPR: 2
; COMPUTE_PGM_RSRC2:TRAP_HANDLER: 0
; COMPUTE_PGM_RSRC2:TGID_X_EN: 1
; COMPUTE_PGM_RSRC2:TGID_Y_EN: 0
; COMPUTE_PGM_RSRC2:TGID_Z_EN: 0
; COMPUTE_PGM_RSRC2:TIDIG_COMP_CNT: 0
	.section	.text._Z20free_func_add_kernelILi256ELi4EEvPKfS1_Pfi,"axG",@progbits,_Z20free_func_add_kernelILi256ELi4EEvPKfS1_Pfi,comdat
	.protected	_Z20free_func_add_kernelILi256ELi4EEvPKfS1_Pfi ; -- Begin function _Z20free_func_add_kernelILi256ELi4EEvPKfS1_Pfi
	.globl	_Z20free_func_add_kernelILi256ELi4EEvPKfS1_Pfi
	.p2align	8
	.type	_Z20free_func_add_kernelILi256ELi4EEvPKfS1_Pfi,@function
_Z20free_func_add_kernelILi256ELi4EEvPKfS1_Pfi: ; @_Z20free_func_add_kernelILi256ELi4EEvPKfS1_Pfi
; %bb.0:
	s_load_b32 s12, s[2:3], 0x18
	s_bfe_u32 s4, ttmp6, 0x4000c
	s_and_b32 s5, ttmp6, 15
	s_add_co_i32 s4, s4, 1
	v_lshlrev_b32_e32 v1, 2, v0
	s_mul_i32 s4, ttmp9, s4
	s_mov_b32 s13, 0
	s_add_co_i32 s5, s5, s4
	s_getreg_b32 s4, hwreg(HW_REG_IB_STS2, 6, 4)
	s_delay_alu instid0(SALU_CYCLE_1) | instskip(SKIP_4) | instid1(VALU_DEP_1)
	s_cmp_eq_u32 s4, 0
	s_cselect_b32 s4, ttmp9, s5
	s_mov_b32 s5, exec_lo
	v_lshl_add_u32 v1, s4, 10, v1
	s_wait_kmcnt 0x0
	v_cmpx_gt_i32_e64 s12, v1
	s_cbranch_execz .LBB1_3
; %bb.1:
	s_clause 0x1
	s_load_b128 s[16:19], s[2:3], 0x0
	s_load_b64 s[8:9], s[2:3], 0x10
	s_load_b32 s11, s[0:1], 0xc
	v_lshlrev_b32_e32 v0, 4, v0
	s_wait_xcnt 0x0
	s_mov_b64 s[2:3], 0x1ffffff
	s_mov_b64 s[6:7], 0x1ffffff
	s_mov_b32 s10, s2
	v_lshl_add_u32 v0, s4, 12, v0
	s_wait_kmcnt 0x0
	s_or_b32 s17, s17, 0xfe000000
	s_or_b32 s19, s19, 0xfe000000
	s_or_b64 s[4:5], s[8:9], 0xfe00000000000000
	s_lshl_b32 s14, s11, 2
	s_lshl_b32 s15, s11, 4
	s_mov_b32 s0, s16
	s_mov_b32 s8, s18
	;; [unrolled: 1-line block ×5, first 2 shown]
.LBB1_2:                                ; =>This Inner Loop Header: Depth=1
	buffer_load_b128 v[2:5], v0, s[0:3], null offen
	buffer_load_b128 v[6:9], v0, s[8:11], null offen
	v_add_nc_u32_e32 v1, s14, v1
	s_wait_loadcnt 0x0
	v_pk_add_f32 v[4:5], v[4:5], v[8:9]
	v_pk_add_f32 v[2:3], v[2:3], v[6:7]
	buffer_store_b128 v[2:5], v0, s[4:7], null offen
	s_wait_xcnt 0x0
	v_add_nc_u32_e32 v0, s15, v0
	v_cmp_le_i32_e32 vcc_lo, s12, v1
	s_or_b32 s13, vcc_lo, s13
	s_delay_alu instid0(SALU_CYCLE_1)
	s_and_not1_b32 exec_lo, exec_lo, s13
	s_cbranch_execnz .LBB1_2
.LBB1_3:
	s_endpgm
	.section	.rodata,"a",@progbits
	.p2align	6, 0x0
	.amdhsa_kernel _Z20free_func_add_kernelILi256ELi4EEvPKfS1_Pfi
		.amdhsa_group_segment_fixed_size 0
		.amdhsa_private_segment_fixed_size 0
		.amdhsa_kernarg_size 28
		.amdhsa_user_sgpr_count 4
		.amdhsa_user_sgpr_dispatch_ptr 1
		.amdhsa_user_sgpr_queue_ptr 0
		.amdhsa_user_sgpr_kernarg_segment_ptr 1
		.amdhsa_user_sgpr_dispatch_id 0
		.amdhsa_user_sgpr_kernarg_preload_length 0
		.amdhsa_user_sgpr_kernarg_preload_offset 0
		.amdhsa_user_sgpr_private_segment_size 0
		.amdhsa_wavefront_size32 1
		.amdhsa_uses_dynamic_stack 0
		.amdhsa_enable_private_segment 0
		.amdhsa_system_sgpr_workgroup_id_x 1
		.amdhsa_system_sgpr_workgroup_id_y 0
		.amdhsa_system_sgpr_workgroup_id_z 0
		.amdhsa_system_sgpr_workgroup_info 0
		.amdhsa_system_vgpr_workitem_id 0
		.amdhsa_next_free_vgpr 10
		.amdhsa_next_free_sgpr 20
		.amdhsa_named_barrier_count 0
		.amdhsa_reserve_vcc 1
		.amdhsa_float_round_mode_32 0
		.amdhsa_float_round_mode_16_64 0
		.amdhsa_float_denorm_mode_32 3
		.amdhsa_float_denorm_mode_16_64 3
		.amdhsa_fp16_overflow 0
		.amdhsa_memory_ordered 1
		.amdhsa_forward_progress 1
		.amdhsa_inst_pref_size 3
		.amdhsa_round_robin_scheduling 0
		.amdhsa_exception_fp_ieee_invalid_op 0
		.amdhsa_exception_fp_denorm_src 0
		.amdhsa_exception_fp_ieee_div_zero 0
		.amdhsa_exception_fp_ieee_overflow 0
		.amdhsa_exception_fp_ieee_underflow 0
		.amdhsa_exception_fp_ieee_inexact 0
		.amdhsa_exception_int_div_zero 0
	.end_amdhsa_kernel
	.section	.text._Z20free_func_add_kernelILi256ELi4EEvPKfS1_Pfi,"axG",@progbits,_Z20free_func_add_kernelILi256ELi4EEvPKfS1_Pfi,comdat
.Lfunc_end1:
	.size	_Z20free_func_add_kernelILi256ELi4EEvPKfS1_Pfi, .Lfunc_end1-_Z20free_func_add_kernelILi256ELi4EEvPKfS1_Pfi
                                        ; -- End function
	.set _Z20free_func_add_kernelILi256ELi4EEvPKfS1_Pfi.num_vgpr, 10
	.set _Z20free_func_add_kernelILi256ELi4EEvPKfS1_Pfi.num_agpr, 0
	.set _Z20free_func_add_kernelILi256ELi4EEvPKfS1_Pfi.numbered_sgpr, 20
	.set _Z20free_func_add_kernelILi256ELi4EEvPKfS1_Pfi.num_named_barrier, 0
	.set _Z20free_func_add_kernelILi256ELi4EEvPKfS1_Pfi.private_seg_size, 0
	.set _Z20free_func_add_kernelILi256ELi4EEvPKfS1_Pfi.uses_vcc, 1
	.set _Z20free_func_add_kernelILi256ELi4EEvPKfS1_Pfi.uses_flat_scratch, 0
	.set _Z20free_func_add_kernelILi256ELi4EEvPKfS1_Pfi.has_dyn_sized_stack, 0
	.set _Z20free_func_add_kernelILi256ELi4EEvPKfS1_Pfi.has_recursion, 0
	.set _Z20free_func_add_kernelILi256ELi4EEvPKfS1_Pfi.has_indirect_call, 0
	.section	.AMDGPU.csdata,"",@progbits
; Kernel info:
; codeLenInByte = 300
; TotalNumSgprs: 22
; NumVgprs: 10
; ScratchSize: 0
; MemoryBound: 0
; FloatMode: 240
; IeeeMode: 1
; LDSByteSize: 0 bytes/workgroup (compile time only)
; SGPRBlocks: 0
; VGPRBlocks: 0
; NumSGPRsForWavesPerEU: 22
; NumVGPRsForWavesPerEU: 10
; NamedBarCnt: 0
; Occupancy: 16
; WaveLimiterHint : 0
; COMPUTE_PGM_RSRC2:SCRATCH_EN: 0
; COMPUTE_PGM_RSRC2:USER_SGPR: 4
; COMPUTE_PGM_RSRC2:TRAP_HANDLER: 0
; COMPUTE_PGM_RSRC2:TGID_X_EN: 1
; COMPUTE_PGM_RSRC2:TGID_Y_EN: 0
; COMPUTE_PGM_RSRC2:TGID_Z_EN: 0
; COMPUTE_PGM_RSRC2:TIDIG_COMP_CNT: 0
	.section	.text._Z28predicated_async_load_kernelILi256EEvPKfPfii,"axG",@progbits,_Z28predicated_async_load_kernelILi256EEvPKfPfii,comdat
	.protected	_Z28predicated_async_load_kernelILi256EEvPKfPfii ; -- Begin function _Z28predicated_async_load_kernelILi256EEvPKfPfii
	.globl	_Z28predicated_async_load_kernelILi256EEvPKfPfii
	.p2align	8
	.type	_Z28predicated_async_load_kernelILi256EEvPKfPfii,@function
_Z28predicated_async_load_kernelILi256EEvPKfPfii: ; @_Z28predicated_async_load_kernelILi256EEvPKfPfii
; %bb.0:
	s_load_b64 s[4:5], s[0:1], 0x10
	s_bfe_u32 s2, ttmp6, 0x4000c
	s_and_b32 s3, ttmp6, 15
	s_add_co_i32 s2, s2, 1
	s_getreg_b32 s6, hwreg(HW_REG_IB_STS2, 6, 4)
	s_mul_i32 s2, ttmp9, s2
	s_delay_alu instid0(SALU_CYCLE_1) | instskip(SKIP_2) | instid1(SALU_CYCLE_1)
	s_add_co_i32 s3, s3, s2
	s_cmp_eq_u32 s6, 0
	s_cselect_b32 s2, ttmp9, s3
	v_lshl_add_u32 v1, s2, 8, v0
	s_mov_b32 s2, exec_lo
	s_wait_kmcnt 0x0
	s_delay_alu instid0(VALU_DEP_1)
	v_cmpx_gt_i32_e64 s5, v1
	s_cbranch_execz .LBB2_6
; %bb.1:
	s_load_b64 s[2:3], s[0:1], 0x8
	v_cmp_le_i32_e32 vcc_lo, s4, v1
	v_lshlrev_b32_e32 v0, 2, v0
	s_and_saveexec_b32 s4, vcc_lo
	s_delay_alu instid0(SALU_CYCLE_1)
	s_xor_b32 s4, exec_lo, s4
; %bb.2:
	v_mov_b32_e32 v2, 0
	ds_store_b32 v0, v2
; %bb.3:
	s_and_not1_saveexec_b32 s4, s4
	s_cbranch_execz .LBB2_5
; %bb.4:
	s_wait_xcnt 0x0
	s_load_b64 s[0:1], s[0:1], 0x0
	s_wait_kmcnt 0x0
	global_load_async_to_lds_b32 v0, v1, s[0:1] scale_offset
.LBB2_5:
	s_or_b32 exec_lo, exec_lo, s4
	s_wait_loadcnt 0x0
	s_wait_asynccnt 0x0
	s_barrier_signal -1
	s_barrier_wait -1
	ds_load_b32 v0, v0
	s_wait_dscnt 0x0
	s_wait_kmcnt 0x0
	global_store_b32 v1, v0, s[2:3] scale_offset
.LBB2_6:
	s_endpgm
	.section	.rodata,"a",@progbits
	.p2align	6, 0x0
	.amdhsa_kernel _Z28predicated_async_load_kernelILi256EEvPKfPfii
		.amdhsa_group_segment_fixed_size 1024
		.amdhsa_private_segment_fixed_size 0
		.amdhsa_kernarg_size 24
		.amdhsa_user_sgpr_count 2
		.amdhsa_user_sgpr_dispatch_ptr 0
		.amdhsa_user_sgpr_queue_ptr 0
		.amdhsa_user_sgpr_kernarg_segment_ptr 1
		.amdhsa_user_sgpr_dispatch_id 0
		.amdhsa_user_sgpr_kernarg_preload_length 0
		.amdhsa_user_sgpr_kernarg_preload_offset 0
		.amdhsa_user_sgpr_private_segment_size 0
		.amdhsa_wavefront_size32 1
		.amdhsa_uses_dynamic_stack 0
		.amdhsa_enable_private_segment 0
		.amdhsa_system_sgpr_workgroup_id_x 1
		.amdhsa_system_sgpr_workgroup_id_y 0
		.amdhsa_system_sgpr_workgroup_id_z 0
		.amdhsa_system_sgpr_workgroup_info 0
		.amdhsa_system_vgpr_workitem_id 0
		.amdhsa_next_free_vgpr 3
		.amdhsa_next_free_sgpr 7
		.amdhsa_named_barrier_count 0
		.amdhsa_reserve_vcc 1
		.amdhsa_float_round_mode_32 0
		.amdhsa_float_round_mode_16_64 0
		.amdhsa_float_denorm_mode_32 3
		.amdhsa_float_denorm_mode_16_64 3
		.amdhsa_fp16_overflow 0
		.amdhsa_memory_ordered 1
		.amdhsa_forward_progress 1
		.amdhsa_inst_pref_size 2
		.amdhsa_round_robin_scheduling 0
		.amdhsa_exception_fp_ieee_invalid_op 0
		.amdhsa_exception_fp_denorm_src 0
		.amdhsa_exception_fp_ieee_div_zero 0
		.amdhsa_exception_fp_ieee_overflow 0
		.amdhsa_exception_fp_ieee_underflow 0
		.amdhsa_exception_fp_ieee_inexact 0
		.amdhsa_exception_int_div_zero 0
	.end_amdhsa_kernel
	.section	.text._Z28predicated_async_load_kernelILi256EEvPKfPfii,"axG",@progbits,_Z28predicated_async_load_kernelILi256EEvPKfPfii,comdat
.Lfunc_end2:
	.size	_Z28predicated_async_load_kernelILi256EEvPKfPfii, .Lfunc_end2-_Z28predicated_async_load_kernelILi256EEvPKfPfii
                                        ; -- End function
	.set _Z28predicated_async_load_kernelILi256EEvPKfPfii.num_vgpr, 3
	.set _Z28predicated_async_load_kernelILi256EEvPKfPfii.num_agpr, 0
	.set _Z28predicated_async_load_kernelILi256EEvPKfPfii.numbered_sgpr, 7
	.set _Z28predicated_async_load_kernelILi256EEvPKfPfii.num_named_barrier, 0
	.set _Z28predicated_async_load_kernelILi256EEvPKfPfii.private_seg_size, 0
	.set _Z28predicated_async_load_kernelILi256EEvPKfPfii.uses_vcc, 1
	.set _Z28predicated_async_load_kernelILi256EEvPKfPfii.uses_flat_scratch, 0
	.set _Z28predicated_async_load_kernelILi256EEvPKfPfii.has_dyn_sized_stack, 0
	.set _Z28predicated_async_load_kernelILi256EEvPKfPfii.has_recursion, 0
	.set _Z28predicated_async_load_kernelILi256EEvPKfPfii.has_indirect_call, 0
	.section	.AMDGPU.csdata,"",@progbits
; Kernel info:
; codeLenInByte = 208
; TotalNumSgprs: 9
; NumVgprs: 3
; ScratchSize: 0
; MemoryBound: 0
; FloatMode: 240
; IeeeMode: 1
; LDSByteSize: 1024 bytes/workgroup (compile time only)
; SGPRBlocks: 0
; VGPRBlocks: 0
; NumSGPRsForWavesPerEU: 9
; NumVGPRsForWavesPerEU: 3
; NamedBarCnt: 0
; Occupancy: 16
; WaveLimiterHint : 0
; COMPUTE_PGM_RSRC2:SCRATCH_EN: 0
; COMPUTE_PGM_RSRC2:USER_SGPR: 2
; COMPUTE_PGM_RSRC2:TRAP_HANDLER: 0
; COMPUTE_PGM_RSRC2:TGID_X_EN: 1
; COMPUTE_PGM_RSRC2:TGID_Y_EN: 0
; COMPUTE_PGM_RSRC2:TGID_Z_EN: 0
; COMPUTE_PGM_RSRC2:TIDIG_COMP_CNT: 0
	.section	.text._Z25predicated_copy_2d_kernelILi256ELi4ELi4EEvPKfPfiii,"axG",@progbits,_Z25predicated_copy_2d_kernelILi256ELi4ELi4EEvPKfPfiii,comdat
	.protected	_Z25predicated_copy_2d_kernelILi256ELi4ELi4EEvPKfPfiii ; -- Begin function _Z25predicated_copy_2d_kernelILi256ELi4ELi4EEvPKfPfiii
	.globl	_Z25predicated_copy_2d_kernelILi256ELi4ELi4EEvPKfPfiii
	.p2align	8
	.type	_Z25predicated_copy_2d_kernelILi256ELi4ELi4EEvPKfPfiii,@function
_Z25predicated_copy_2d_kernelILi256ELi4ELi4EEvPKfPfiii: ; @_Z25predicated_copy_2d_kernelILi256ELi4ELi4EEvPKfPfiii
; %bb.0:
	s_clause 0x1
	s_load_b64 s[2:3], s[0:1], 0x0
	s_load_b96 s[12:14], s[0:1], 0x10
	s_bfe_u32 s4, ttmp6, 0x4000c
	s_and_b32 s5, ttmp6, 15
	s_add_co_i32 s4, s4, 1
	s_getreg_b32 s6, hwreg(HW_REG_IB_STS2, 6, 4)
	s_mul_i32 s4, ttmp9, s4
	v_dual_lshlrev_b32 v6, 2, v0 :: v_dual_mov_b32 v0, 0
	s_add_co_i32 s5, s5, s4
	s_cmp_eq_u32 s6, 0
	v_mov_b32_e32 v2, 0
	s_cselect_b32 s4, ttmp9, s5
	s_mov_b64 s[10:11], 0x1ffffff
	s_lshl_b32 s15, s4, 2
	s_wait_kmcnt 0x0
	s_or_b64 s[8:9], s[2:3], 0xfe00000000000000
	v_mad_u32 v1, s14, s15, v6
	v_cmp_gt_i32_e64 s2, s13, v6
	s_cmp_lt_i32 s15, s12
	s_cselect_b32 s6, -1, 0
	s_delay_alu instid0(SALU_CYCLE_1) | instskip(NEXT) | instid1(SALU_CYCLE_1)
	s_and_b32 s4, s6, s2
	s_and_saveexec_b32 s3, s4
	s_cbranch_execz .LBB3_2
; %bb.1:
	v_lshlrev_b32_e32 v2, 2, v1
	buffer_load_b32 v2, v2, s[8:11], null offen
.LBB3_2:
	s_wait_xcnt 0x0
	s_or_b32 exec_lo, exec_lo, s3
	v_or_b32_e32 v3, 1, v6
	v_or_b32_e32 v4, 1, v1
	s_delay_alu instid0(VALU_DEP_2) | instskip(SKIP_1) | instid1(SALU_CYCLE_1)
	v_cmp_gt_i32_e64 s3, s13, v3
	s_and_b32 s5, s6, s3
	s_and_saveexec_b32 s4, s5
	s_cbranch_execz .LBB3_4
; %bb.3:
	v_lshlrev_b32_e32 v0, 2, v4
	buffer_load_b32 v0, v0, s[8:11], null offen
.LBB3_4:
	s_wait_xcnt 0x0
	s_or_b32 exec_lo, exec_lo, s4
	v_dual_mov_b32 v7, 0 :: v_dual_bitop2_b32 v3, 2, v6 bitop3:0x54
	v_or_b32_e32 v5, 2, v1
	s_delay_alu instid0(VALU_DEP_2) | instskip(SKIP_2) | instid1(SALU_CYCLE_1)
	v_cmp_gt_i32_e64 s4, s13, v3
	v_mov_b32_e32 v3, 0
	s_and_b32 s7, s6, s4
	s_and_saveexec_b32 s5, s7
	s_cbranch_execz .LBB3_6
; %bb.5:
	v_lshlrev_b32_e32 v7, 2, v5
	buffer_load_b32 v7, v7, s[8:11], null offen
.LBB3_6:
	s_wait_xcnt 0x0
	s_or_b32 exec_lo, exec_lo, s5
	v_or_b32_e32 v6, 3, v6
	v_or_b32_e32 v8, 3, v1
	s_delay_alu instid0(VALU_DEP_2) | instskip(SKIP_1) | instid1(SALU_CYCLE_1)
	v_cmp_gt_i32_e64 s5, s13, v6
	s_and_b32 s13, s6, s5
	s_and_saveexec_b32 s7, s13
	s_cbranch_execz .LBB3_8
; %bb.7:
	v_lshlrev_b32_e32 v3, 2, v8
	buffer_load_b32 v3, v3, s[8:11], null offen
.LBB3_8:
	s_wait_xcnt 0x0
	s_or_b32 exec_lo, exec_lo, s7
	s_or_b32 s7, s15, 1
	v_dual_mov_b32 v6, 0 :: v_dual_add_nc_u32 v9, s14, v1
	s_cmp_lt_i32 s7, s12
	v_mov_b32_e32 v11, 0
	s_cselect_b32 s7, -1, 0
	s_delay_alu instid0(SALU_CYCLE_1) | instskip(NEXT) | instid1(SALU_CYCLE_1)
	s_and_b32 s16, s7, s2
	s_and_saveexec_b32 s13, s16
	s_cbranch_execz .LBB3_10
; %bb.9:
	v_lshlrev_b32_e32 v10, 2, v9
	buffer_load_b32 v11, v10, s[8:11], null offen
.LBB3_10:
	s_wait_xcnt 0x0
	s_or_b32 exec_lo, exec_lo, s13
	v_add_nc_u32_e32 v12, s14, v4
	s_and_b32 s16, s7, s3
	s_delay_alu instid0(SALU_CYCLE_1)
	s_and_saveexec_b32 s13, s16
	s_cbranch_execz .LBB3_12
; %bb.11:
	s_delay_alu instid0(VALU_DEP_1)
	v_lshlrev_b32_e32 v6, 2, v12
	buffer_load_b32 v6, v6, s[8:11], null offen
.LBB3_12:
	s_wait_xcnt 0x0
	s_or_b32 exec_lo, exec_lo, s13
	v_dual_add_nc_u32 v14, s14, v5 :: v_dual_mov_b32 v10, 0
	v_mov_b32_e32 v15, 0
	s_and_b32 s16, s7, s4
	s_delay_alu instid0(SALU_CYCLE_1)
	s_and_saveexec_b32 s13, s16
	s_cbranch_execz .LBB3_14
; %bb.13:
	v_lshlrev_b32_e32 v13, 2, v14
	buffer_load_b32 v15, v13, s[8:11], null offen
.LBB3_14:
	s_wait_xcnt 0x0
	s_or_b32 exec_lo, exec_lo, s13
	v_add_nc_u32_e32 v16, s14, v8
	s_and_b32 s16, s7, s5
	s_delay_alu instid0(SALU_CYCLE_1)
	s_and_saveexec_b32 s13, s16
	s_cbranch_execz .LBB3_16
; %bb.15:
	s_delay_alu instid0(VALU_DEP_1)
	v_lshlrev_b32_e32 v10, 2, v16
	buffer_load_b32 v10, v10, s[8:11], null offen
.LBB3_16:
	s_wait_xcnt 0x0
	s_or_b32 exec_lo, exec_lo, s13
	s_or_b32 s13, s15, 2
	v_dual_add_nc_u32 v17, s14, v9 :: v_dual_mov_b32 v13, 0
	s_cmp_lt_i32 s13, s12
	v_mov_b32_e32 v19, 0
	s_cselect_b32 s13, -1, 0
	s_delay_alu instid0(SALU_CYCLE_1) | instskip(NEXT) | instid1(SALU_CYCLE_1)
	s_and_b32 s17, s13, s2
	s_and_saveexec_b32 s16, s17
	s_cbranch_execz .LBB3_18
; %bb.17:
	v_lshlrev_b32_e32 v18, 2, v17
	buffer_load_b32 v19, v18, s[8:11], null offen
.LBB3_18:
	s_wait_xcnt 0x0
	s_or_b32 exec_lo, exec_lo, s16
	v_add_nc_u32_e32 v20, s14, v12
	s_and_b32 s17, s13, s3
	s_delay_alu instid0(SALU_CYCLE_1)
	s_and_saveexec_b32 s16, s17
	s_cbranch_execz .LBB3_20
; %bb.19:
	s_delay_alu instid0(VALU_DEP_1)
	v_lshlrev_b32_e32 v13, 2, v20
	buffer_load_b32 v13, v13, s[8:11], null offen
.LBB3_20:
	s_wait_xcnt 0x0
	s_or_b32 exec_lo, exec_lo, s16
	v_dual_add_nc_u32 v22, s14, v14 :: v_dual_mov_b32 v18, 0
	v_mov_b32_e32 v23, 0
	s_and_b32 s17, s13, s4
	s_delay_alu instid0(SALU_CYCLE_1)
	s_and_saveexec_b32 s16, s17
	s_cbranch_execz .LBB3_22
; %bb.21:
	v_lshlrev_b32_e32 v21, 2, v22
	buffer_load_b32 v23, v21, s[8:11], null offen
.LBB3_22:
	s_wait_xcnt 0x0
	s_or_b32 exec_lo, exec_lo, s16
	v_add_nc_u32_e32 v24, s14, v16
	s_and_b32 s17, s13, s5
	s_delay_alu instid0(SALU_CYCLE_1)
	s_and_saveexec_b32 s16, s17
	s_cbranch_execz .LBB3_24
; %bb.23:
	s_delay_alu instid0(VALU_DEP_1)
	v_lshlrev_b32_e32 v18, 2, v24
	buffer_load_b32 v18, v18, s[8:11], null offen
.LBB3_24:
	s_wait_xcnt 0x0
	s_or_b32 exec_lo, exec_lo, s16
	s_or_b32 s15, s15, 3
	v_dual_add_nc_u32 v25, s14, v17 :: v_dual_mov_b32 v21, 0
	s_cmp_lt_i32 s15, s12
	v_mov_b32_e32 v27, 0
	s_cselect_b32 s12, -1, 0
	s_delay_alu instid0(SALU_CYCLE_1) | instskip(NEXT) | instid1(SALU_CYCLE_1)
	s_and_b32 s16, s12, s2
	s_and_saveexec_b32 s15, s16
	s_cbranch_execz .LBB3_26
; %bb.25:
	v_lshlrev_b32_e32 v26, 2, v25
	buffer_load_b32 v27, v26, s[8:11], null offen
.LBB3_26:
	s_wait_xcnt 0x0
	s_or_b32 exec_lo, exec_lo, s15
	v_add_nc_u32_e32 v28, s14, v20
	s_and_b32 s16, s12, s3
	s_delay_alu instid0(SALU_CYCLE_1)
	s_and_saveexec_b32 s15, s16
	s_cbranch_execz .LBB3_28
; %bb.27:
	s_delay_alu instid0(VALU_DEP_1)
	v_lshlrev_b32_e32 v21, 2, v28
	buffer_load_b32 v21, v21, s[8:11], null offen
.LBB3_28:
	s_wait_xcnt 0x0
	s_or_b32 exec_lo, exec_lo, s15
	v_dual_mov_b32 v26, 0 :: v_dual_add_nc_u32 v29, s14, v22
	v_mov_b32_e32 v30, 0
	s_and_b32 s16, s12, s4
	s_delay_alu instid0(SALU_CYCLE_1)
	s_and_saveexec_b32 s15, s16
	s_cbranch_execz .LBB3_30
; %bb.29:
	v_lshlrev_b32_e32 v30, 2, v29
	buffer_load_b32 v30, v30, s[8:11], null offen
.LBB3_30:
	s_wait_xcnt 0x0
	s_or_b32 exec_lo, exec_lo, s15
	s_load_b64 s[0:1], s[0:1], 0x8
	v_add_nc_u32_e32 v31, s14, v24
	s_and_b32 s15, s12, s5
	s_delay_alu instid0(SALU_CYCLE_1)
	s_and_saveexec_b32 s14, s15
	s_cbranch_execnz .LBB3_36
; %bb.31:
	s_or_b32 exec_lo, exec_lo, s14
	s_delay_alu instid0(SALU_CYCLE_1)
	s_and_not1_b32 vcc_lo, exec_lo, s6
	s_wait_kmcnt 0x0
	s_or_b64 s[8:9], s[0:1], 0xfe00000000000000
	s_cbranch_vccz .LBB3_37
.LBB3_32:
	s_and_not1_b32 vcc_lo, exec_lo, s7
	s_cbranch_vccz .LBB3_43
.LBB3_33:
	s_and_not1_b32 vcc_lo, exec_lo, s13
	s_cbranch_vccz .LBB3_49
.LBB3_34:
	s_and_not1_b32 vcc_lo, exec_lo, s12
	s_cbranch_vccz .LBB3_55
.LBB3_35:
	s_endpgm
.LBB3_36:
	s_delay_alu instid0(VALU_DEP_1) | instskip(SKIP_3) | instid1(SALU_CYCLE_1)
	v_lshlrev_b32_e32 v26, 2, v31
	buffer_load_b32 v26, v26, s[8:11], null offen
	s_wait_xcnt 0x0
	s_or_b32 exec_lo, exec_lo, s14
	s_and_not1_b32 vcc_lo, exec_lo, s6
	s_wait_kmcnt 0x0
	s_or_b64 s[8:9], s[0:1], 0xfe00000000000000
	s_cbranch_vccnz .LBB3_32
.LBB3_37:
	s_and_saveexec_b32 s0, s2
	s_cbranch_execnz .LBB3_59
; %bb.38:
	s_or_b32 exec_lo, exec_lo, s0
	s_and_saveexec_b32 s0, s3
	s_cbranch_execnz .LBB3_60
.LBB3_39:
	s_or_b32 exec_lo, exec_lo, s0
	s_and_saveexec_b32 s0, s4
	s_cbranch_execnz .LBB3_61
.LBB3_40:
	s_or_b32 exec_lo, exec_lo, s0
	s_and_saveexec_b32 s0, s5
	s_cbranch_execz .LBB3_42
.LBB3_41:
	s_wait_loadcnt 0x0
	v_lshlrev_b32_e32 v0, 2, v8
	buffer_store_b32 v3, v0, s[8:11], null offen
.LBB3_42:
	s_wait_xcnt 0x0
	s_or_b32 exec_lo, exec_lo, s0
	s_delay_alu instid0(SALU_CYCLE_1)
	s_and_not1_b32 vcc_lo, exec_lo, s7
	s_cbranch_vccnz .LBB3_33
.LBB3_43:
	s_and_saveexec_b32 s0, s2
	s_cbranch_execnz .LBB3_62
; %bb.44:
	s_or_b32 exec_lo, exec_lo, s0
	s_and_saveexec_b32 s0, s3
	s_cbranch_execnz .LBB3_63
.LBB3_45:
	s_or_b32 exec_lo, exec_lo, s0
	s_and_saveexec_b32 s0, s4
	s_cbranch_execnz .LBB3_64
.LBB3_46:
	s_or_b32 exec_lo, exec_lo, s0
	s_and_saveexec_b32 s0, s5
	s_cbranch_execz .LBB3_48
.LBB3_47:
	s_wait_loadcnt 0x0
	v_lshlrev_b32_e32 v0, 2, v16
	buffer_store_b32 v10, v0, s[8:11], null offen
.LBB3_48:
	s_wait_xcnt 0x0
	s_or_b32 exec_lo, exec_lo, s0
	s_delay_alu instid0(SALU_CYCLE_1)
	s_and_not1_b32 vcc_lo, exec_lo, s13
	s_cbranch_vccnz .LBB3_34
.LBB3_49:
	s_and_saveexec_b32 s0, s2
	s_cbranch_execnz .LBB3_65
; %bb.50:
	s_or_b32 exec_lo, exec_lo, s0
	s_and_saveexec_b32 s0, s3
	s_cbranch_execnz .LBB3_66
.LBB3_51:
	s_or_b32 exec_lo, exec_lo, s0
	s_and_saveexec_b32 s0, s4
	s_cbranch_execnz .LBB3_67
.LBB3_52:
	s_or_b32 exec_lo, exec_lo, s0
	s_and_saveexec_b32 s0, s5
	s_cbranch_execz .LBB3_54
.LBB3_53:
	s_wait_loadcnt 0x0
	v_lshlrev_b32_e32 v0, 2, v24
	buffer_store_b32 v18, v0, s[8:11], null offen
.LBB3_54:
	s_wait_xcnt 0x0
	s_or_b32 exec_lo, exec_lo, s0
	s_delay_alu instid0(SALU_CYCLE_1)
	s_and_not1_b32 vcc_lo, exec_lo, s12
	s_cbranch_vccnz .LBB3_35
.LBB3_55:
	s_and_saveexec_b32 s0, s2
	s_cbranch_execnz .LBB3_68
; %bb.56:
	s_or_b32 exec_lo, exec_lo, s0
	s_and_saveexec_b32 s0, s3
	s_cbranch_execnz .LBB3_69
.LBB3_57:
	s_or_b32 exec_lo, exec_lo, s0
	s_and_saveexec_b32 s0, s4
	s_cbranch_execnz .LBB3_70
.LBB3_58:
	s_or_b32 exec_lo, exec_lo, s0
	s_and_saveexec_b32 s0, s5
	s_cbranch_execz .LBB3_35
	s_branch .LBB3_71
.LBB3_59:
	v_lshlrev_b32_e32 v1, 2, v1
	s_wait_loadcnt 0x0
	buffer_store_b32 v2, v1, s[8:11], null offen
	s_wait_xcnt 0x0
	s_or_b32 exec_lo, exec_lo, s0
	s_and_saveexec_b32 s0, s3
	s_cbranch_execz .LBB3_39
.LBB3_60:
	v_lshlrev_b32_e32 v1, 2, v4
	s_wait_loadcnt 0x0
	buffer_store_b32 v0, v1, s[8:11], null offen
	s_wait_xcnt 0x0
	s_or_b32 exec_lo, exec_lo, s0
	s_and_saveexec_b32 s0, s4
	s_cbranch_execz .LBB3_40
.LBB3_61:
	s_wait_loadcnt 0x0
	v_lshlrev_b32_e32 v0, 2, v5
	buffer_store_b32 v7, v0, s[8:11], null offen
	s_wait_xcnt 0x0
	s_or_b32 exec_lo, exec_lo, s0
	s_and_saveexec_b32 s0, s5
	s_cbranch_execnz .LBB3_41
	s_branch .LBB3_42
.LBB3_62:
	s_wait_loadcnt 0x0
	v_lshlrev_b32_e32 v0, 2, v9
	buffer_store_b32 v11, v0, s[8:11], null offen
	s_wait_xcnt 0x0
	s_or_b32 exec_lo, exec_lo, s0
	s_and_saveexec_b32 s0, s3
	s_cbranch_execz .LBB3_45
.LBB3_63:
	s_wait_loadcnt 0x0
	v_lshlrev_b32_e32 v0, 2, v12
	buffer_store_b32 v6, v0, s[8:11], null offen
	s_wait_xcnt 0x0
	s_or_b32 exec_lo, exec_lo, s0
	s_and_saveexec_b32 s0, s4
	s_cbranch_execz .LBB3_46
.LBB3_64:
	s_wait_loadcnt 0x0
	v_lshlrev_b32_e32 v0, 2, v14
	buffer_store_b32 v15, v0, s[8:11], null offen
	s_wait_xcnt 0x0
	s_or_b32 exec_lo, exec_lo, s0
	s_and_saveexec_b32 s0, s5
	s_cbranch_execnz .LBB3_47
	s_branch .LBB3_48
.LBB3_65:
	s_wait_loadcnt 0x0
	v_lshlrev_b32_e32 v0, 2, v17
	buffer_store_b32 v19, v0, s[8:11], null offen
	s_wait_xcnt 0x0
	s_or_b32 exec_lo, exec_lo, s0
	s_and_saveexec_b32 s0, s3
	s_cbranch_execz .LBB3_51
.LBB3_66:
	s_wait_loadcnt 0x0
	v_lshlrev_b32_e32 v0, 2, v20
	buffer_store_b32 v13, v0, s[8:11], null offen
	s_wait_xcnt 0x0
	s_or_b32 exec_lo, exec_lo, s0
	s_and_saveexec_b32 s0, s4
	s_cbranch_execz .LBB3_52
.LBB3_67:
	s_wait_loadcnt 0x0
	v_lshlrev_b32_e32 v0, 2, v22
	buffer_store_b32 v23, v0, s[8:11], null offen
	s_wait_xcnt 0x0
	s_or_b32 exec_lo, exec_lo, s0
	s_and_saveexec_b32 s0, s5
	s_cbranch_execnz .LBB3_53
	s_branch .LBB3_54
.LBB3_68:
	s_wait_loadcnt 0x0
	v_lshlrev_b32_e32 v0, 2, v25
	buffer_store_b32 v27, v0, s[8:11], null offen
	s_wait_xcnt 0x0
	s_or_b32 exec_lo, exec_lo, s0
	s_and_saveexec_b32 s0, s3
	s_cbranch_execz .LBB3_57
.LBB3_69:
	s_wait_loadcnt 0x0
	v_lshlrev_b32_e32 v0, 2, v28
	buffer_store_b32 v21, v0, s[8:11], null offen
	s_wait_xcnt 0x0
	s_or_b32 exec_lo, exec_lo, s0
	s_and_saveexec_b32 s0, s4
	s_cbranch_execz .LBB3_58
.LBB3_70:
	s_wait_loadcnt 0x0
	v_lshlrev_b32_e32 v0, 2, v29
	buffer_store_b32 v30, v0, s[8:11], null offen
	s_wait_xcnt 0x0
	s_or_b32 exec_lo, exec_lo, s0
	s_and_saveexec_b32 s0, s5
	s_cbranch_execz .LBB3_35
.LBB3_71:
	s_wait_loadcnt 0x0
	v_lshlrev_b32_e32 v0, 2, v31
	buffer_store_b32 v26, v0, s[8:11], null offen
	s_endpgm
	.section	.rodata,"a",@progbits
	.p2align	6, 0x0
	.amdhsa_kernel _Z25predicated_copy_2d_kernelILi256ELi4ELi4EEvPKfPfiii
		.amdhsa_group_segment_fixed_size 0
		.amdhsa_private_segment_fixed_size 0
		.amdhsa_kernarg_size 28
		.amdhsa_user_sgpr_count 2
		.amdhsa_user_sgpr_dispatch_ptr 0
		.amdhsa_user_sgpr_queue_ptr 0
		.amdhsa_user_sgpr_kernarg_segment_ptr 1
		.amdhsa_user_sgpr_dispatch_id 0
		.amdhsa_user_sgpr_kernarg_preload_length 0
		.amdhsa_user_sgpr_kernarg_preload_offset 0
		.amdhsa_user_sgpr_private_segment_size 0
		.amdhsa_wavefront_size32 1
		.amdhsa_uses_dynamic_stack 0
		.amdhsa_enable_private_segment 0
		.amdhsa_system_sgpr_workgroup_id_x 1
		.amdhsa_system_sgpr_workgroup_id_y 0
		.amdhsa_system_sgpr_workgroup_id_z 0
		.amdhsa_system_sgpr_workgroup_info 0
		.amdhsa_system_vgpr_workitem_id 0
		.amdhsa_next_free_vgpr 32
		.amdhsa_next_free_sgpr 18
		.amdhsa_named_barrier_count 0
		.amdhsa_reserve_vcc 1
		.amdhsa_float_round_mode_32 0
		.amdhsa_float_round_mode_16_64 0
		.amdhsa_float_denorm_mode_32 3
		.amdhsa_float_denorm_mode_16_64 3
		.amdhsa_fp16_overflow 0
		.amdhsa_memory_ordered 1
		.amdhsa_forward_progress 1
		.amdhsa_inst_pref_size 15
		.amdhsa_round_robin_scheduling 0
		.amdhsa_exception_fp_ieee_invalid_op 0
		.amdhsa_exception_fp_denorm_src 0
		.amdhsa_exception_fp_ieee_div_zero 0
		.amdhsa_exception_fp_ieee_overflow 0
		.amdhsa_exception_fp_ieee_underflow 0
		.amdhsa_exception_fp_ieee_inexact 0
		.amdhsa_exception_int_div_zero 0
	.end_amdhsa_kernel
	.section	.text._Z25predicated_copy_2d_kernelILi256ELi4ELi4EEvPKfPfiii,"axG",@progbits,_Z25predicated_copy_2d_kernelILi256ELi4ELi4EEvPKfPfiii,comdat
.Lfunc_end3:
	.size	_Z25predicated_copy_2d_kernelILi256ELi4ELi4EEvPKfPfiii, .Lfunc_end3-_Z25predicated_copy_2d_kernelILi256ELi4ELi4EEvPKfPfiii
                                        ; -- End function
	.set _Z25predicated_copy_2d_kernelILi256ELi4ELi4EEvPKfPfiii.num_vgpr, 32
	.set _Z25predicated_copy_2d_kernelILi256ELi4ELi4EEvPKfPfiii.num_agpr, 0
	.set _Z25predicated_copy_2d_kernelILi256ELi4ELi4EEvPKfPfiii.numbered_sgpr, 18
	.set _Z25predicated_copy_2d_kernelILi256ELi4ELi4EEvPKfPfiii.num_named_barrier, 0
	.set _Z25predicated_copy_2d_kernelILi256ELi4ELi4EEvPKfPfiii.private_seg_size, 0
	.set _Z25predicated_copy_2d_kernelILi256ELi4ELi4EEvPKfPfiii.uses_vcc, 1
	.set _Z25predicated_copy_2d_kernelILi256ELi4ELi4EEvPKfPfiii.uses_flat_scratch, 0
	.set _Z25predicated_copy_2d_kernelILi256ELi4ELi4EEvPKfPfiii.has_dyn_sized_stack, 0
	.set _Z25predicated_copy_2d_kernelILi256ELi4ELi4EEvPKfPfiii.has_recursion, 0
	.set _Z25predicated_copy_2d_kernelILi256ELi4ELi4EEvPKfPfiii.has_indirect_call, 0
	.section	.AMDGPU.csdata,"",@progbits
; Kernel info:
; codeLenInByte = 1856
; TotalNumSgprs: 20
; NumVgprs: 32
; ScratchSize: 0
; MemoryBound: 0
; FloatMode: 240
; IeeeMode: 1
; LDSByteSize: 0 bytes/workgroup (compile time only)
; SGPRBlocks: 0
; VGPRBlocks: 1
; NumSGPRsForWavesPerEU: 20
; NumVGPRsForWavesPerEU: 32
; NamedBarCnt: 0
; Occupancy: 16
; WaveLimiterHint : 0
; COMPUTE_PGM_RSRC2:SCRATCH_EN: 0
; COMPUTE_PGM_RSRC2:USER_SGPR: 2
; COMPUTE_PGM_RSRC2:TRAP_HANDLER: 0
; COMPUTE_PGM_RSRC2:TGID_X_EN: 1
; COMPUTE_PGM_RSRC2:TGID_Y_EN: 0
; COMPUTE_PGM_RSRC2:TGID_Z_EN: 0
; COMPUTE_PGM_RSRC2:TIDIG_COMP_CNT: 0
	.section	.AMDGPU.gpr_maximums,"",@progbits
	.set amdgpu.max_num_vgpr, 0
	.set amdgpu.max_num_agpr, 0
	.set amdgpu.max_num_sgpr, 0
	.section	.AMDGPU.csdata,"",@progbits
	.type	__hip_cuid_cb5c1348b80ded3e,@object ; @__hip_cuid_cb5c1348b80ded3e
	.section	.bss,"aw",@nobits
	.globl	__hip_cuid_cb5c1348b80ded3e
__hip_cuid_cb5c1348b80ded3e:
	.byte	0                               ; 0x0
	.size	__hip_cuid_cb5c1348b80ded3e, 1

	.ident	"AMD clang version 22.0.0git (https://github.com/RadeonOpenCompute/llvm-project roc-7.2.4 26084 f58b06dce1f9c15707c5f808fd002e18c2accf7e)"
	.section	".note.GNU-stack","",@progbits
	.addrsig
	.addrsig_sym __hip_cuid_cb5c1348b80ded3e
	.amdgpu_metadata
---
amdhsa.kernels:
  - .args:
      - .actual_access:  read_only
        .address_space:  global
        .offset:         0
        .size:           8
        .value_kind:     global_buffer
      - .actual_access:  write_only
        .address_space:  global
        .offset:         8
        .size:           8
        .value_kind:     global_buffer
      - .offset:         16
        .size:           4
        .value_kind:     by_value
    .group_segment_fixed_size: 0
    .kernarg_segment_align: 8
    .kernarg_segment_size: 20
    .language:       OpenCL C
    .language_version:
      - 2
      - 0
    .max_flat_workgroup_size: 1024
    .name:           _Z22predicated_copy_kernelILi256ELi4EEvPKfPfi
    .private_segment_fixed_size: 0
    .sgpr_count:     13
    .sgpr_spill_count: 0
    .symbol:         _Z22predicated_copy_kernelILi256ELi4EEvPKfPfi.kd
    .uniform_work_group_size: 1
    .uses_dynamic_stack: false
    .vgpr_count:     6
    .vgpr_spill_count: 0
    .wavefront_size: 32
  - .args:
      - .address_space:  global
        .offset:         0
        .size:           8
        .value_kind:     global_buffer
      - .address_space:  global
        .offset:         8
        .size:           8
        .value_kind:     global_buffer
      - .address_space:  global
        .offset:         16
        .size:           8
        .value_kind:     global_buffer
      - .offset:         24
        .size:           4
        .value_kind:     by_value
    .group_segment_fixed_size: 0
    .kernarg_segment_align: 8
    .kernarg_segment_size: 28
    .language:       OpenCL C
    .language_version:
      - 2
      - 0
    .max_flat_workgroup_size: 1024
    .name:           _Z20free_func_add_kernelILi256ELi4EEvPKfS1_Pfi
    .private_segment_fixed_size: 0
    .sgpr_count:     22
    .sgpr_spill_count: 0
    .symbol:         _Z20free_func_add_kernelILi256ELi4EEvPKfS1_Pfi.kd
    .uniform_work_group_size: 1
    .uses_dynamic_stack: false
    .vgpr_count:     10
    .vgpr_spill_count: 0
    .wavefront_size: 32
  - .args:
      - .actual_access:  read_only
        .address_space:  global
        .offset:         0
        .size:           8
        .value_kind:     global_buffer
      - .actual_access:  write_only
        .address_space:  global
        .offset:         8
        .size:           8
        .value_kind:     global_buffer
      - .offset:         16
        .size:           4
        .value_kind:     by_value
      - .offset:         20
        .size:           4
        .value_kind:     by_value
    .group_segment_fixed_size: 1024
    .kernarg_segment_align: 8
    .kernarg_segment_size: 24
    .language:       OpenCL C
    .language_version:
      - 2
      - 0
    .max_flat_workgroup_size: 1024
    .name:           _Z28predicated_async_load_kernelILi256EEvPKfPfii
    .private_segment_fixed_size: 0
    .sgpr_count:     9
    .sgpr_spill_count: 0
    .symbol:         _Z28predicated_async_load_kernelILi256EEvPKfPfii.kd
    .uniform_work_group_size: 1
    .uses_dynamic_stack: false
    .vgpr_count:     3
    .vgpr_spill_count: 0
    .wavefront_size: 32
  - .args:
      - .actual_access:  read_only
        .address_space:  global
        .offset:         0
        .size:           8
        .value_kind:     global_buffer
      - .actual_access:  write_only
        .address_space:  global
        .offset:         8
        .size:           8
        .value_kind:     global_buffer
      - .offset:         16
        .size:           4
        .value_kind:     by_value
      - .offset:         20
        .size:           4
        .value_kind:     by_value
      - .offset:         24
        .size:           4
        .value_kind:     by_value
    .group_segment_fixed_size: 0
    .kernarg_segment_align: 8
    .kernarg_segment_size: 28
    .language:       OpenCL C
    .language_version:
      - 2
      - 0
    .max_flat_workgroup_size: 1024
    .name:           _Z25predicated_copy_2d_kernelILi256ELi4ELi4EEvPKfPfiii
    .private_segment_fixed_size: 0
    .sgpr_count:     20
    .sgpr_spill_count: 0
    .symbol:         _Z25predicated_copy_2d_kernelILi256ELi4ELi4EEvPKfPfiii.kd
    .uniform_work_group_size: 1
    .uses_dynamic_stack: false
    .vgpr_count:     32
    .vgpr_spill_count: 0
    .wavefront_size: 32
amdhsa.target:   amdgcn-amd-amdhsa--gfx1250
amdhsa.version:
  - 1
  - 2
...

	.end_amdgpu_metadata
